;; amdgpu-corpus repo=zjin-lcf/HeCBench kind=compiled arch=gfx1250 opt=O3
	.amdgcn_target "amdgcn-amd-amdhsa--gfx1250"
	.amdhsa_code_object_version 6
	.section	.text._Z27rmsnorm_fwd_two_scan_kernelIfLi4EEvPKT_S2_PS0_lf,"axG",@progbits,_Z27rmsnorm_fwd_two_scan_kernelIfLi4EEvPKT_S2_PS0_lf,comdat
	.protected	_Z27rmsnorm_fwd_two_scan_kernelIfLi4EEvPKT_S2_PS0_lf ; -- Begin function _Z27rmsnorm_fwd_two_scan_kernelIfLi4EEvPKT_S2_PS0_lf
	.globl	_Z27rmsnorm_fwd_two_scan_kernelIfLi4EEvPKT_S2_PS0_lf
	.p2align	8
	.type	_Z27rmsnorm_fwd_two_scan_kernelIfLi4EEvPKT_S2_PS0_lf,@function
_Z27rmsnorm_fwd_two_scan_kernelIfLi4EEvPKT_S2_PS0_lf: ; @_Z27rmsnorm_fwd_two_scan_kernelIfLi4EEvPKT_S2_PS0_lf
; %bb.0:
	s_clause 0x2
	s_load_b32 s2, s[0:1], 0x34
	s_load_b128 s[4:7], s[0:1], 0x10
	s_load_b64 s[8:9], s[0:1], 0x0
	s_bfe_u32 s3, ttmp6, 0x4000c
	v_dual_mov_b32 v3, 0 :: v_dual_lshlrev_b32 v2, 2, v0
	s_add_co_i32 s3, s3, 1
	s_and_b32 s10, ttmp6, 15
	s_mul_i32 s3, ttmp9, s3
	s_getreg_b32 s11, hwreg(HW_REG_IB_STS2, 6, 4)
	s_add_co_i32 s10, s10, s3
	v_dual_mov_b32 v5, v3 :: v_dual_lshlrev_b32 v4, 4, v0
	s_mov_b32 s13, 0
	s_wait_kmcnt 0x0
	s_and_b32 s16, s2, 0xffff
	s_cmp_eq_u32 s11, 0
	v_cmp_gt_i64_e32 vcc_lo, s[6:7], v[2:3]
	s_cselect_b32 s2, ttmp9, s10
	s_delay_alu instid0(SALU_CYCLE_1) | instskip(NEXT) | instid1(SALU_CYCLE_1)
	s_ashr_i32 s3, s2, 31
	s_mul_u64 s[10:11], s[6:7], s[2:3]
	s_and_saveexec_b32 s3, vcc_lo
	s_cbranch_execz .LBB0_4
; %bb.1:
	v_mov_b32_e32 v5, 0
	s_lshl_b64 s[14:15], s[10:11], 2
	v_mov_b64_e32 v[8:9], v[2:3]
	s_add_nc_u64 s[14:15], s[8:9], s[14:15]
	s_lshl_b32 s12, s16, 2
	v_add_nc_u64_e32 v[6:7], s[14:15], v[4:5]
	s_lshl_b32 s14, s16, 4
	s_mov_b32 s15, s13
	s_mov_b32 s17, s13
	s_delay_alu instid0(VALU_DEP_1)
	v_add_nc_u64_e32 v[6:7], 8, v[6:7]
.LBB0_2:                                ; =>This Inner Loop Header: Depth=1
	global_load_b128 v[10:13], v[6:7], off offset:-8
	v_add_nc_u64_e32 v[8:9], s[12:13], v[8:9]
	s_wait_xcnt 0x0
	v_add_nc_u64_e32 v[6:7], s[14:15], v[6:7]
	s_delay_alu instid0(VALU_DEP_2) | instskip(SKIP_4) | instid1(VALU_DEP_2)
	v_cmp_le_i64_e64 s2, s[6:7], v[8:9]
	s_or_b32 s17, s2, s17
	s_wait_loadcnt 0x0
	v_pk_mul_f32 v[10:11], v[10:11], v[10:11]
	v_pk_mul_f32 v[12:13], v[12:13], v[12:13]
	v_add_f32_e32 v1, v5, v10
	s_delay_alu instid0(VALU_DEP_1) | instskip(NEXT) | instid1(VALU_DEP_1)
	v_add_f32_e32 v1, v1, v11
	v_add_f32_e32 v1, v1, v12
	s_delay_alu instid0(VALU_DEP_1)
	v_add_f32_e32 v5, v1, v13
	s_and_not1_b32 exec_lo, exec_lo, s17
	s_cbranch_execnz .LBB0_2
; %bb.3:
	s_or_b32 exec_lo, exec_lo, s17
.LBB0_4:
	s_delay_alu instid0(SALU_CYCLE_1) | instskip(SKIP_2) | instid1(VALU_DEP_1)
	s_or_b32 exec_lo, exec_lo, s3
	v_mbcnt_lo_u32_b32 v8, -1, 0
	s_load_b64 s[12:13], s[0:1], 0x8
	v_xor_b32_e32 v6, 8, v8
	v_xor_b32_e32 v1, 16, v8
	;; [unrolled: 1-line block ×3, first 2 shown]
	s_delay_alu instid0(VALU_DEP_2) | instskip(NEXT) | instid1(VALU_DEP_1)
	v_cmp_gt_i32_e64 s2, 32, v1
	v_cndmask_b32_e64 v1, v8, v1, s2
	v_cmp_gt_i32_e64 s2, 32, v6
	s_delay_alu instid0(VALU_DEP_1) | instskip(NEXT) | instid1(VALU_DEP_1)
	v_cndmask_b32_e64 v6, v8, v6, s2
	v_dual_lshlrev_b32 v6, 2, v6 :: v_dual_lshlrev_b32 v1, 2, v1
	ds_bpermute_b32 v7, v1, v5
	s_wait_dscnt 0x0
	v_add_f32_e32 v7, v5, v7
	ds_bpermute_b32 v9, v6, v7
	s_wait_dscnt 0x0
	v_dual_add_f32 v9, v7, v9 :: v_dual_bitop2_b32 v5, 4, v8 bitop3:0x14
	s_delay_alu instid0(VALU_DEP_1) | instskip(NEXT) | instid1(VALU_DEP_1)
	v_cmp_gt_i32_e64 s2, 32, v5
	v_dual_cndmask_b32 v5, v8, v5, s2 :: v_dual_bitop2_b32 v7, 2, v8 bitop3:0x14
	s_delay_alu instid0(VALU_DEP_1) | instskip(NEXT) | instid1(VALU_DEP_2)
	v_cmp_gt_i32_e64 s2, 32, v7
	v_lshlrev_b32_e32 v5, 2, v5
	ds_bpermute_b32 v10, v5, v9
	v_cndmask_b32_e64 v7, v8, v7, s2
	v_cmp_gt_i32_e64 s2, 32, v11
	s_wait_dscnt 0x0
	s_delay_alu instid0(VALU_DEP_2) | instskip(SKIP_3) | instid1(VALU_DEP_1)
	v_dual_add_f32 v9, v9, v10 :: v_dual_lshlrev_b32 v7, 2, v7
	ds_bpermute_b32 v10, v7, v9
	s_wait_dscnt 0x0
	v_dual_cndmask_b32 v8, v8, v11, s2 :: v_dual_add_f32 v10, v9, v10
	v_lshlrev_b32_e32 v8, 2, v8
	v_and_b32_e32 v9, 31, v0
	ds_bpermute_b32 v11, v8, v10
	v_cmp_eq_u32_e64 s2, 0, v9
	s_and_saveexec_b32 s3, s2
	s_cbranch_execz .LBB0_6
; %bb.5:
	s_wait_dscnt 0x0
	v_dual_add_f32 v10, v10, v11 :: v_dual_lshrrev_b32 v11, 3, v0
	ds_store_b32 v11, v10
.LBB0_6:
	s_or_b32 exec_lo, exec_lo, s3
	s_delay_alu instid0(SALU_CYCLE_1)
	s_mov_b32 s14, exec_lo
	s_wait_dscnt 0x0
	s_barrier_signal -1
	s_barrier_wait -1
	v_cmpx_gt_u32_e32 32, v0
	s_cbranch_execz .LBB0_11
; %bb.7:
	v_mov_b32_e32 v0, 0
	s_add_co_i32 s3, s16, 31
	s_mov_b32 s15, exec_lo
	s_lshr_b32 s3, s3, 5
	s_delay_alu instid0(SALU_CYCLE_1)
	v_cmpx_gt_u32_e64 s3, v9
; %bb.8:
	v_lshlrev_b32_e32 v0, 2, v9
	ds_load_b32 v0, v0
; %bb.9:
	s_or_b32 exec_lo, exec_lo, s15
	s_wait_dscnt 0x0
	ds_bpermute_b32 v1, v1, v0
	s_wait_dscnt 0x0
	v_add_f32_e32 v0, v0, v1
	ds_bpermute_b32 v1, v6, v0
	s_wait_dscnt 0x0
	v_add_f32_e32 v0, v0, v1
	ds_bpermute_b32 v1, v5, v0
	s_wait_dscnt 0x0
	v_add_f32_e32 v0, v0, v1
	ds_bpermute_b32 v1, v7, v0
	s_wait_dscnt 0x0
	v_add_f32_e32 v0, v0, v1
	ds_bpermute_b32 v1, v8, v0
	s_and_b32 exec_lo, exec_lo, s2
	s_cbranch_execz .LBB0_11
; %bb.10:
	s_wait_dscnt 0x0
	v_dual_add_f32 v0, v0, v1 :: v_dual_mov_b32 v1, 0
	ds_store_b32 v1, v0
.LBB0_11:
	s_or_b32 exec_lo, exec_lo, s14
	s_wait_dscnt 0x0
	s_barrier_signal -1
	s_barrier_wait -1
	s_and_saveexec_b32 s2, vcc_lo
	s_cbranch_execz .LBB0_14
; %bb.12:
	v_mov_b32_e32 v5, 0
	s_xor_b32 s3, s6, s7
	s_cls_i32 s2, s7
	s_ashr_i32 s3, s3, 31
	s_add_co_i32 s2, s2, -1
	ds_load_b32 v0, v5
	s_add_co_i32 s3, s3, 32
	s_wait_xcnt 0x0
	s_load_b32 s0, s[0:1], 0x20
	s_min_u32 s14, s2, s3
	s_lshl_b64 s[10:11], s[10:11], 2
	s_lshl_b64 s[2:3], s[6:7], s14
	s_wait_xcnt 0x0
	s_mov_b32 s1, 0
	s_min_u32 s2, s2, 1
	s_add_nc_u64 s[4:5], s[4:5], s[10:11]
	s_or_b32 s2, s3, s2
	s_sub_co_i32 s3, 32, s14
	s_cvt_f32_i32 s2, s2
	s_add_nc_u64 s[8:9], s[8:9], s[10:11]
	s_add_nc_u64 s[4:5], s[4:5], 8
	s_wait_kmcnt 0x0
	s_add_nc_u64 s[10:11], s[12:13], 8
	v_ldexp_f32 v1, s2, s3
	s_lshl_b32 s2, s16, 4
	s_mov_b32 s3, s1
	s_mov_b32 s12, s1
	s_wait_dscnt 0x0
	v_div_scale_f32 v6, null, v1, v1, v0
	v_div_scale_f32 v9, vcc_lo, v0, v1, v0
	s_delay_alu instid0(VALU_DEP_2)
	v_rcp_f32_e32 v7, v6
	v_nop
	v_xor_b32_e32 v6, 0x80000000, v6
	s_delay_alu instid0(TRANS32_DEP_1) | instid1(VALU_DEP_1)
	v_fma_f32 v8, v6, v7, 1.0
	s_delay_alu instid0(VALU_DEP_1) | instskip(NEXT) | instid1(VALU_DEP_1)
	v_fmac_f32_e32 v7, v8, v7
	v_mul_f32_e32 v8, v9, v7
	s_delay_alu instid0(VALU_DEP_1) | instskip(NEXT) | instid1(VALU_DEP_1)
	v_fma_f32 v10, v6, v8, v9
	v_fmac_f32_e32 v8, v10, v7
	s_delay_alu instid0(VALU_DEP_1) | instskip(NEXT) | instid1(VALU_DEP_1)
	v_fmac_f32_e32 v9, v6, v8
	v_div_fmas_f32 v6, v9, v7, v8
	s_delay_alu instid0(VALU_DEP_1) | instskip(NEXT) | instid1(VALU_DEP_1)
	v_div_fixup_f32 v0, v6, v1, v0
	v_add_f32_e32 v0, s0, v0
	s_lshl_b32 s0, s16, 2
	s_delay_alu instid0(VALU_DEP_1) | instskip(SKIP_1) | instid1(VALU_DEP_2)
	v_mul_f32_e32 v1, 0x4b800000, v0
	v_cmp_gt_f32_e32 vcc_lo, 0x800000, v0
	v_cndmask_b32_e32 v0, v0, v1, vcc_lo
	s_delay_alu instid0(VALU_DEP_1) | instskip(SKIP_1) | instid1(TRANS32_DEP_1)
	v_rsq_f32_e32 v0, v0
	v_nop
	v_mul_f32_e32 v1, 0x45800000, v0
	s_delay_alu instid0(VALU_DEP_1) | instskip(NEXT) | instid1(VALU_DEP_1)
	v_cndmask_b32_e32 v0, v0, v1, vcc_lo
	v_mov_b32_e32 v1, v0
.LBB0_13:                               ; =>This Inner Loop Header: Depth=1
	v_add_nc_u64_e32 v[14:15], s[8:9], v[4:5]
	v_add_nc_u64_e32 v[16:17], s[10:11], v[4:5]
	;; [unrolled: 1-line block ×3, first 2 shown]
	global_load_b128 v[6:9], v[14:15], off
	global_load_b128 v[10:13], v[16:17], off offset:-8
	s_wait_xcnt 0x1
	v_add_nc_u64_e32 v[14:15], s[4:5], v[4:5]
	v_cmp_le_i64_e32 vcc_lo, s[6:7], v[2:3]
	v_add_nc_u64_e32 v[4:5], s[2:3], v[4:5]
	s_or_b32 s12, vcc_lo, s12
	s_wait_loadcnt 0x1
	v_pk_mul_f32 v[6:7], v[0:1], v[6:7]
	v_pk_mul_f32 v[8:9], v[0:1], v[8:9]
	s_wait_loadcnt 0x0
	s_delay_alu instid0(VALU_DEP_2) | instskip(NEXT) | instid1(VALU_DEP_2)
	v_pk_mul_f32 v[6:7], v[6:7], v[10:11]
	v_pk_mul_f32 v[8:9], v[8:9], v[12:13]
	global_store_b128 v[14:15], v[6:9], off offset:-8
	s_wait_xcnt 0x0
	s_and_not1_b32 exec_lo, exec_lo, s12
	s_cbranch_execnz .LBB0_13
.LBB0_14:
	s_endpgm
	.section	.rodata,"a",@progbits
	.p2align	6, 0x0
	.amdhsa_kernel _Z27rmsnorm_fwd_two_scan_kernelIfLi4EEvPKT_S2_PS0_lf
		.amdhsa_group_segment_fixed_size 128
		.amdhsa_private_segment_fixed_size 0
		.amdhsa_kernarg_size 296
		.amdhsa_user_sgpr_count 2
		.amdhsa_user_sgpr_dispatch_ptr 0
		.amdhsa_user_sgpr_queue_ptr 0
		.amdhsa_user_sgpr_kernarg_segment_ptr 1
		.amdhsa_user_sgpr_dispatch_id 0
		.amdhsa_user_sgpr_kernarg_preload_length 0
		.amdhsa_user_sgpr_kernarg_preload_offset 0
		.amdhsa_user_sgpr_private_segment_size 0
		.amdhsa_wavefront_size32 1
		.amdhsa_uses_dynamic_stack 0
		.amdhsa_enable_private_segment 0
		.amdhsa_system_sgpr_workgroup_id_x 1
		.amdhsa_system_sgpr_workgroup_id_y 0
		.amdhsa_system_sgpr_workgroup_id_z 0
		.amdhsa_system_sgpr_workgroup_info 0
		.amdhsa_system_vgpr_workitem_id 0
		.amdhsa_next_free_vgpr 18
		.amdhsa_next_free_sgpr 18
		.amdhsa_named_barrier_count 0
		.amdhsa_reserve_vcc 1
		.amdhsa_float_round_mode_32 0
		.amdhsa_float_round_mode_16_64 0
		.amdhsa_float_denorm_mode_32 3
		.amdhsa_float_denorm_mode_16_64 3
		.amdhsa_fp16_overflow 0
		.amdhsa_memory_ordered 1
		.amdhsa_forward_progress 1
		.amdhsa_inst_pref_size 10
		.amdhsa_round_robin_scheduling 0
		.amdhsa_exception_fp_ieee_invalid_op 0
		.amdhsa_exception_fp_denorm_src 0
		.amdhsa_exception_fp_ieee_div_zero 0
		.amdhsa_exception_fp_ieee_overflow 0
		.amdhsa_exception_fp_ieee_underflow 0
		.amdhsa_exception_fp_ieee_inexact 0
		.amdhsa_exception_int_div_zero 0
	.end_amdhsa_kernel
	.section	.text._Z27rmsnorm_fwd_two_scan_kernelIfLi4EEvPKT_S2_PS0_lf,"axG",@progbits,_Z27rmsnorm_fwd_two_scan_kernelIfLi4EEvPKT_S2_PS0_lf,comdat
.Lfunc_end0:
	.size	_Z27rmsnorm_fwd_two_scan_kernelIfLi4EEvPKT_S2_PS0_lf, .Lfunc_end0-_Z27rmsnorm_fwd_two_scan_kernelIfLi4EEvPKT_S2_PS0_lf
                                        ; -- End function
	.set _Z27rmsnorm_fwd_two_scan_kernelIfLi4EEvPKT_S2_PS0_lf.num_vgpr, 18
	.set _Z27rmsnorm_fwd_two_scan_kernelIfLi4EEvPKT_S2_PS0_lf.num_agpr, 0
	.set _Z27rmsnorm_fwd_two_scan_kernelIfLi4EEvPKT_S2_PS0_lf.numbered_sgpr, 18
	.set _Z27rmsnorm_fwd_two_scan_kernelIfLi4EEvPKT_S2_PS0_lf.num_named_barrier, 0
	.set _Z27rmsnorm_fwd_two_scan_kernelIfLi4EEvPKT_S2_PS0_lf.private_seg_size, 0
	.set _Z27rmsnorm_fwd_two_scan_kernelIfLi4EEvPKT_S2_PS0_lf.uses_vcc, 1
	.set _Z27rmsnorm_fwd_two_scan_kernelIfLi4EEvPKT_S2_PS0_lf.uses_flat_scratch, 0
	.set _Z27rmsnorm_fwd_two_scan_kernelIfLi4EEvPKT_S2_PS0_lf.has_dyn_sized_stack, 0
	.set _Z27rmsnorm_fwd_two_scan_kernelIfLi4EEvPKT_S2_PS0_lf.has_recursion, 0
	.set _Z27rmsnorm_fwd_two_scan_kernelIfLi4EEvPKT_S2_PS0_lf.has_indirect_call, 0
	.section	.AMDGPU.csdata,"",@progbits
; Kernel info:
; codeLenInByte = 1172
; TotalNumSgprs: 20
; NumVgprs: 18
; ScratchSize: 0
; MemoryBound: 0
; FloatMode: 240
; IeeeMode: 1
; LDSByteSize: 128 bytes/workgroup (compile time only)
; SGPRBlocks: 0
; VGPRBlocks: 1
; NumSGPRsForWavesPerEU: 20
; NumVGPRsForWavesPerEU: 18
; NamedBarCnt: 0
; Occupancy: 16
; WaveLimiterHint : 0
; COMPUTE_PGM_RSRC2:SCRATCH_EN: 0
; COMPUTE_PGM_RSRC2:USER_SGPR: 2
; COMPUTE_PGM_RSRC2:TRAP_HANDLER: 0
; COMPUTE_PGM_RSRC2:TGID_X_EN: 1
; COMPUTE_PGM_RSRC2:TGID_Y_EN: 0
; COMPUTE_PGM_RSRC2:TGID_Z_EN: 0
; COMPUTE_PGM_RSRC2:TIDIG_COMP_CNT: 0
	.section	.text._Z27rmsnorm_fwd_two_scan_kernelIfLi1EEvPKT_S2_PS0_lf,"axG",@progbits,_Z27rmsnorm_fwd_two_scan_kernelIfLi1EEvPKT_S2_PS0_lf,comdat
	.protected	_Z27rmsnorm_fwd_two_scan_kernelIfLi1EEvPKT_S2_PS0_lf ; -- Begin function _Z27rmsnorm_fwd_two_scan_kernelIfLi1EEvPKT_S2_PS0_lf
	.globl	_Z27rmsnorm_fwd_two_scan_kernelIfLi1EEvPKT_S2_PS0_lf
	.p2align	8
	.type	_Z27rmsnorm_fwd_two_scan_kernelIfLi1EEvPKT_S2_PS0_lf,@function
_Z27rmsnorm_fwd_two_scan_kernelIfLi1EEvPKT_S2_PS0_lf: ; @_Z27rmsnorm_fwd_two_scan_kernelIfLi1EEvPKT_S2_PS0_lf
; %bb.0:
	s_clause 0x2
	s_load_b32 s2, s[0:1], 0x34
	s_load_b128 s[4:7], s[0:1], 0x10
	s_load_b64 s[10:11], s[0:1], 0x0
	s_bfe_u32 s8, ttmp6, 0x4000c
	v_mov_b32_e32 v1, 0
	s_add_co_i32 s8, s8, 1
	s_and_b32 s3, ttmp6, 15
	s_mul_i32 s12, ttmp9, s8
	s_getreg_b32 s9, hwreg(HW_REG_IB_STS2, 6, 4)
	s_add_co_i32 s3, s3, s12
	v_mov_b32_e32 v3, v1
	s_wait_kmcnt 0x0
	s_and_b32 s8, s2, 0xffff
	s_cmp_eq_u32 s9, 0
	v_cmp_gt_i64_e32 vcc_lo, s[6:7], v[0:1]
	s_cselect_b32 s2, ttmp9, s3
	s_mov_b32 s9, 0
	s_ashr_i32 s3, s2, 31
	s_delay_alu instid0(SALU_CYCLE_1)
	s_mul_u64 s[12:13], s[6:7], s[2:3]
	s_and_saveexec_b32 s3, vcc_lo
	s_cbranch_execz .LBB1_4
; %bb.1:
	v_dual_mov_b32 v3, 0 :: v_dual_lshlrev_b32 v2, 2, v0
	s_lshl_b64 s[14:15], s[12:13], 2
	v_mov_b64_e32 v[6:7], v[0:1]
	s_add_nc_u64 s[14:15], s[10:11], s[14:15]
	s_mov_b32 s16, s9
	v_add_nc_u64_e32 v[4:5], s[14:15], v[2:3]
	s_lshl_b32 s14, s8, 2
	s_mov_b32 s15, s9
.LBB1_2:                                ; =>This Inner Loop Header: Depth=1
	global_load_b32 v2, v[4:5], off
	v_add_nc_u64_e32 v[6:7], s[8:9], v[6:7]
	s_wait_xcnt 0x0
	v_add_nc_u64_e32 v[4:5], s[14:15], v[4:5]
	s_delay_alu instid0(VALU_DEP_2)
	v_cmp_le_i64_e64 s2, s[6:7], v[6:7]
	s_or_b32 s16, s2, s16
	s_wait_loadcnt 0x0
	v_fmac_f32_e32 v3, v2, v2
	s_and_not1_b32 exec_lo, exec_lo, s16
	s_cbranch_execnz .LBB1_2
; %bb.3:
	s_or_b32 exec_lo, exec_lo, s16
.LBB1_4:
	s_delay_alu instid0(SALU_CYCLE_1) | instskip(SKIP_2) | instid1(VALU_DEP_1)
	s_or_b32 exec_lo, exec_lo, s3
	v_mbcnt_lo_u32_b32 v6, -1, 0
	s_load_b64 s[14:15], s[0:1], 0x8
	v_xor_b32_e32 v4, 8, v6
	v_xor_b32_e32 v2, 16, v6
	;; [unrolled: 1-line block ×3, first 2 shown]
	s_delay_alu instid0(VALU_DEP_2) | instskip(NEXT) | instid1(VALU_DEP_1)
	v_cmp_gt_i32_e64 s2, 32, v2
	v_cndmask_b32_e64 v2, v6, v2, s2
	v_cmp_gt_i32_e64 s2, 32, v4
	s_delay_alu instid0(VALU_DEP_1) | instskip(NEXT) | instid1(VALU_DEP_1)
	v_cndmask_b32_e64 v4, v6, v4, s2
	v_dual_lshlrev_b32 v4, 2, v4 :: v_dual_lshlrev_b32 v2, 2, v2
	ds_bpermute_b32 v5, v2, v3
	s_wait_dscnt 0x0
	v_add_f32_e32 v5, v3, v5
	ds_bpermute_b32 v7, v4, v5
	s_wait_dscnt 0x0
	v_dual_add_f32 v7, v5, v7 :: v_dual_bitop2_b32 v3, 4, v6 bitop3:0x14
	s_delay_alu instid0(VALU_DEP_1) | instskip(NEXT) | instid1(VALU_DEP_1)
	v_cmp_gt_i32_e64 s2, 32, v3
	v_dual_cndmask_b32 v3, v6, v3, s2 :: v_dual_bitop2_b32 v5, 2, v6 bitop3:0x14
	s_delay_alu instid0(VALU_DEP_1) | instskip(NEXT) | instid1(VALU_DEP_2)
	v_cmp_gt_i32_e64 s2, 32, v5
	v_lshlrev_b32_e32 v3, 2, v3
	ds_bpermute_b32 v8, v3, v7
	v_cndmask_b32_e64 v5, v6, v5, s2
	v_cmp_gt_i32_e64 s2, 32, v9
	s_wait_dscnt 0x0
	s_delay_alu instid0(VALU_DEP_2) | instskip(SKIP_3) | instid1(VALU_DEP_1)
	v_dual_add_f32 v7, v7, v8 :: v_dual_lshlrev_b32 v5, 2, v5
	ds_bpermute_b32 v8, v5, v7
	s_wait_dscnt 0x0
	v_dual_cndmask_b32 v6, v6, v9, s2 :: v_dual_add_f32 v8, v7, v8
	v_dual_lshlrev_b32 v6, 2, v6 :: v_dual_bitop2_b32 v7, 31, v0 bitop3:0x40
	ds_bpermute_b32 v9, v6, v8
	v_cmp_eq_u32_e64 s2, 0, v7
	s_and_saveexec_b32 s3, s2
	s_cbranch_execz .LBB1_6
; %bb.5:
	s_wait_dscnt 0x0
	v_dual_add_f32 v8, v8, v9 :: v_dual_lshrrev_b32 v9, 3, v0
	ds_store_b32 v9, v8
.LBB1_6:
	s_or_b32 exec_lo, exec_lo, s3
	s_delay_alu instid0(SALU_CYCLE_1)
	s_mov_b32 s9, exec_lo
	s_wait_dscnt 0x0
	s_barrier_signal -1
	s_barrier_wait -1
	v_cmpx_gt_u32_e32 32, v0
	s_cbranch_execz .LBB1_11
; %bb.7:
	v_mov_b32_e32 v8, 0
	s_add_co_i32 s3, s8, 31
	s_mov_b32 s16, exec_lo
	s_lshr_b32 s3, s3, 5
	s_delay_alu instid0(SALU_CYCLE_1)
	v_cmpx_gt_u32_e64 s3, v7
; %bb.8:
	v_lshlrev_b32_e32 v7, 2, v7
	ds_load_b32 v8, v7
; %bb.9:
	s_or_b32 exec_lo, exec_lo, s16
	s_wait_dscnt 0x0
	ds_bpermute_b32 v2, v2, v8
	s_wait_dscnt 0x0
	v_add_f32_e32 v2, v8, v2
	ds_bpermute_b32 v4, v4, v2
	s_wait_dscnt 0x0
	v_add_f32_e32 v2, v2, v4
	;; [unrolled: 3-line block ×4, first 2 shown]
	ds_bpermute_b32 v3, v6, v2
	s_and_b32 exec_lo, exec_lo, s2
	s_cbranch_execz .LBB1_11
; %bb.10:
	s_wait_dscnt 0x0
	v_dual_add_f32 v2, v2, v3 :: v_dual_mov_b32 v3, 0
	ds_store_b32 v3, v2
.LBB1_11:
	s_or_b32 exec_lo, exec_lo, s9
	s_wait_dscnt 0x0
	s_barrier_signal -1
	s_barrier_wait -1
	s_and_saveexec_b32 s2, vcc_lo
	s_cbranch_execz .LBB1_19
; %bb.12:
	v_mov_b32_e32 v7, 0
	s_xor_b32 s3, s6, s7
	s_cls_i32 s2, s7
	s_ashr_i32 s3, s3, 31
	s_add_co_i32 s2, s2, -1
	ds_load_b32 v4, v7
	s_add_co_i32 s3, s3, 32
	s_wait_xcnt 0x0
	s_load_b32 s0, s[0:1], 0x20
	s_min_u32 s9, s2, s3
	s_wait_xcnt 0x0
	s_and_b32 s1, s8, 0xffff
	s_lshl_b64 s[2:3], s[6:7], s9
	v_add_nc_u32_e32 v6, 1, v0
	s_min_u32 s2, s2, 1
	s_delay_alu instid0(SALU_CYCLE_1) | instskip(SKIP_4) | instid1(SALU_CYCLE_1)
	s_or_b32 s2, s3, s2
	s_sub_co_i32 s3, 32, s9
	s_cvt_f32_i32 s2, s2
	s_cmp_eq_u32 s1, 1
	s_mov_b32 s1, -1
	v_ldexp_f32 v5, s2, s3
	s_cselect_b32 s2, -1, 0
	s_wait_dscnt 0x0
	s_delay_alu instid0(VALU_DEP_1) | instskip(SKIP_1) | instid1(VALU_DEP_2)
	v_div_scale_f32 v2, null, v5, v5, v4
	v_div_scale_f32 v10, vcc_lo, v4, v5, v4
	v_rcp_f32_e32 v8, v2
	v_xor_b32_e32 v9, 0x80000000, v2
	s_delay_alu instid0(TRANS32_DEP_1) | instid1(VALU_DEP_1)
	v_fma_f32 v2, v9, v8, 1.0
	s_delay_alu instid0(VALU_DEP_1) | instskip(NEXT) | instid1(VALU_DEP_1)
	v_fmac_f32_e32 v8, v2, v8
	v_mul_f32_e32 v11, v10, v8
	s_delay_alu instid0(VALU_DEP_1) | instskip(NEXT) | instid1(VALU_DEP_1)
	v_fma_f32 v2, v9, v11, v10
	v_fmac_f32_e32 v11, v2, v8
	v_max_i64 v[2:3], s[6:7], v[6:7]
	s_delay_alu instid0(VALU_DEP_2) | instskip(NEXT) | instid1(VALU_DEP_1)
	v_fmac_f32_e32 v10, v9, v11
	v_div_fmas_f32 v6, v10, v8, v11
	s_delay_alu instid0(VALU_DEP_1) | instskip(SKIP_1) | instid1(VALU_DEP_1)
	v_div_fixup_f32 v4, v6, v5, v4
	s_wait_kmcnt 0x0
	v_add_f32_e32 v4, s0, v4
	s_delay_alu instid0(VALU_DEP_1) | instskip(SKIP_1) | instid1(VALU_DEP_1)
	v_cmp_gt_f32_e32 vcc_lo, 0x800000, v4
	v_mul_f32_e32 v5, 0x4b800000, v4
	v_cndmask_b32_e32 v4, v4, v5, vcc_lo
	s_delay_alu instid0(VALU_DEP_1) | instskip(SKIP_2) | instid1(TRANS32_DEP_1)
	v_rsq_f32_e32 v6, v4
	v_nop
	v_sub_nc_u64_e32 v[4:5], v[2:3], v[0:1]
	v_mul_f32_e32 v2, 0x45800000, v6
	s_delay_alu instid0(VALU_DEP_2) | instskip(NEXT) | instid1(VALU_DEP_2)
	v_cmp_lt_u64_e64 s0, 3, v[4:5]
	v_cndmask_b32_e32 v2, v6, v2, vcc_lo
	s_and_b32 s2, s0, s2
	s_delay_alu instid0(SALU_CYCLE_1)
	s_and_saveexec_b32 s0, s2
	s_cbranch_execz .LBB1_16
; %bb.13:
	v_lshlrev_b32_e32 v6, 2, v0
	s_mov_b32 s1, 0
	v_mov_b32_e32 v3, v2
	s_delay_alu instid0(VALU_DEP_2) | instskip(SKIP_2) | instid1(VALU_DEP_3)
	v_lshl_add_u64 v[8:9], s[12:13], 2, v[6:7]
	v_add_nc_u64_e32 v[12:13], s[14:15], v[6:7]
	v_dual_mov_b32 v7, v5 :: v_dual_bitop2_b32 v6, -4, v4 bitop3:0x40
	v_add_nc_u64_e32 v[10:11], 8, v[8:9]
	s_delay_alu instid0(VALU_DEP_2) | instskip(NEXT) | instid1(VALU_DEP_4)
	v_mov_b64_e32 v[14:15], v[6:7]
	v_add_nc_u64_e32 v[12:13], 8, v[12:13]
	s_delay_alu instid0(VALU_DEP_3)
	v_add_nc_u64_e32 v[8:9], s[10:11], v[10:11]
	v_add_nc_u64_e32 v[10:11], s[4:5], v[10:11]
.LBB1_14:                               ; =>This Inner Loop Header: Depth=1
	global_load_b128 v[16:19], v[8:9], off offset:-8
	global_load_b128 v[20:23], v[12:13], off offset:-8
	v_add_nc_u64_e32 v[14:15], -4, v[14:15]
	s_wait_xcnt 0x1
	v_add_nc_u64_e32 v[8:9], 16, v[8:9]
	s_wait_xcnt 0x0
	v_add_nc_u64_e32 v[12:13], 16, v[12:13]
	s_delay_alu instid0(VALU_DEP_3)
	v_cmp_eq_u64_e32 vcc_lo, 0, v[14:15]
	s_or_b32 s1, vcc_lo, s1
	s_wait_loadcnt 0x1
	v_pk_mul_f32 v[16:17], v[2:3], v[16:17]
	v_pk_mul_f32 v[18:19], v[2:3], v[18:19]
	s_wait_loadcnt 0x0
	s_delay_alu instid0(VALU_DEP_2) | instskip(NEXT) | instid1(VALU_DEP_2)
	v_pk_mul_f32 v[16:17], v[16:17], v[20:21]
	v_pk_mul_f32 v[18:19], v[18:19], v[22:23]
	global_store_b128 v[10:11], v[16:19], off offset:-8
	s_wait_xcnt 0x0
	v_add_nc_u64_e32 v[10:11], 16, v[10:11]
	s_and_not1_b32 exec_lo, exec_lo, s1
	s_cbranch_execnz .LBB1_14
; %bb.15:
	s_or_b32 exec_lo, exec_lo, s1
	v_cmp_ne_u64_e32 vcc_lo, v[4:5], v[6:7]
	v_add_nc_u64_e32 v[0:1], v[6:7], v[0:1]
	s_or_not1_b32 s1, vcc_lo, exec_lo
.LBB1_16:
	s_or_b32 exec_lo, exec_lo, s0
	s_delay_alu instid0(SALU_CYCLE_1)
	s_and_b32 exec_lo, exec_lo, s1
	s_cbranch_execz .LBB1_19
; %bb.17:
	s_delay_alu instid0(VALU_DEP_1) | instskip(SKIP_2) | instid1(SALU_CYCLE_1)
	v_lshlrev_b64_e32 v[4:5], 2, v[0:1]
	s_mov_b32 s9, 0
	s_lshl_b64 s[2:3], s[12:13], 2
	s_add_nc_u64 s[0:1], s[10:11], s[2:3]
	s_add_nc_u64 s[2:3], s[4:5], s[2:3]
	s_lshl_b32 s4, s8, 2
	s_mov_b32 s5, s9
	s_mov_b32 s10, s9
.LBB1_18:                               ; =>This Inner Loop Header: Depth=1
	v_add_nc_u64_e32 v[6:7], s[0:1], v[4:5]
	v_add_nc_u64_e32 v[8:9], s[14:15], v[4:5]
	;; [unrolled: 1-line block ×3, first 2 shown]
	global_load_b32 v3, v[6:7], off
	global_load_b32 v10, v[8:9], off
	s_wait_xcnt 0x1
	v_add_nc_u64_e32 v[6:7], s[2:3], v[4:5]
	v_cmp_le_i64_e32 vcc_lo, s[6:7], v[0:1]
	v_add_nc_u64_e32 v[4:5], s[4:5], v[4:5]
	s_or_b32 s10, vcc_lo, s10
	s_wait_loadcnt 0x1
	v_mul_f32_e32 v3, v2, v3
	s_wait_loadcnt 0x0
	s_delay_alu instid0(VALU_DEP_1)
	v_mul_f32_e32 v3, v3, v10
	global_store_b32 v[6:7], v3, off
	s_wait_xcnt 0x0
	s_and_not1_b32 exec_lo, exec_lo, s10
	s_cbranch_execnz .LBB1_18
.LBB1_19:
	s_endpgm
	.section	.rodata,"a",@progbits
	.p2align	6, 0x0
	.amdhsa_kernel _Z27rmsnorm_fwd_two_scan_kernelIfLi1EEvPKT_S2_PS0_lf
		.amdhsa_group_segment_fixed_size 128
		.amdhsa_private_segment_fixed_size 0
		.amdhsa_kernarg_size 296
		.amdhsa_user_sgpr_count 2
		.amdhsa_user_sgpr_dispatch_ptr 0
		.amdhsa_user_sgpr_queue_ptr 0
		.amdhsa_user_sgpr_kernarg_segment_ptr 1
		.amdhsa_user_sgpr_dispatch_id 0
		.amdhsa_user_sgpr_kernarg_preload_length 0
		.amdhsa_user_sgpr_kernarg_preload_offset 0
		.amdhsa_user_sgpr_private_segment_size 0
		.amdhsa_wavefront_size32 1
		.amdhsa_uses_dynamic_stack 0
		.amdhsa_enable_private_segment 0
		.amdhsa_system_sgpr_workgroup_id_x 1
		.amdhsa_system_sgpr_workgroup_id_y 0
		.amdhsa_system_sgpr_workgroup_id_z 0
		.amdhsa_system_sgpr_workgroup_info 0
		.amdhsa_system_vgpr_workitem_id 0
		.amdhsa_next_free_vgpr 24
		.amdhsa_next_free_sgpr 17
		.amdhsa_named_barrier_count 0
		.amdhsa_reserve_vcc 1
		.amdhsa_float_round_mode_32 0
		.amdhsa_float_round_mode_16_64 0
		.amdhsa_float_denorm_mode_32 3
		.amdhsa_float_denorm_mode_16_64 3
		.amdhsa_fp16_overflow 0
		.amdhsa_memory_ordered 1
		.amdhsa_forward_progress 1
		.amdhsa_inst_pref_size 11
		.amdhsa_round_robin_scheduling 0
		.amdhsa_exception_fp_ieee_invalid_op 0
		.amdhsa_exception_fp_denorm_src 0
		.amdhsa_exception_fp_ieee_div_zero 0
		.amdhsa_exception_fp_ieee_overflow 0
		.amdhsa_exception_fp_ieee_underflow 0
		.amdhsa_exception_fp_ieee_inexact 0
		.amdhsa_exception_int_div_zero 0
	.end_amdhsa_kernel
	.section	.text._Z27rmsnorm_fwd_two_scan_kernelIfLi1EEvPKT_S2_PS0_lf,"axG",@progbits,_Z27rmsnorm_fwd_two_scan_kernelIfLi1EEvPKT_S2_PS0_lf,comdat
.Lfunc_end1:
	.size	_Z27rmsnorm_fwd_two_scan_kernelIfLi1EEvPKT_S2_PS0_lf, .Lfunc_end1-_Z27rmsnorm_fwd_two_scan_kernelIfLi1EEvPKT_S2_PS0_lf
                                        ; -- End function
	.set _Z27rmsnorm_fwd_two_scan_kernelIfLi1EEvPKT_S2_PS0_lf.num_vgpr, 24
	.set _Z27rmsnorm_fwd_two_scan_kernelIfLi1EEvPKT_S2_PS0_lf.num_agpr, 0
	.set _Z27rmsnorm_fwd_two_scan_kernelIfLi1EEvPKT_S2_PS0_lf.numbered_sgpr, 17
	.set _Z27rmsnorm_fwd_two_scan_kernelIfLi1EEvPKT_S2_PS0_lf.num_named_barrier, 0
	.set _Z27rmsnorm_fwd_two_scan_kernelIfLi1EEvPKT_S2_PS0_lf.private_seg_size, 0
	.set _Z27rmsnorm_fwd_two_scan_kernelIfLi1EEvPKT_S2_PS0_lf.uses_vcc, 1
	.set _Z27rmsnorm_fwd_two_scan_kernelIfLi1EEvPKT_S2_PS0_lf.uses_flat_scratch, 0
	.set _Z27rmsnorm_fwd_two_scan_kernelIfLi1EEvPKT_S2_PS0_lf.has_dyn_sized_stack, 0
	.set _Z27rmsnorm_fwd_two_scan_kernelIfLi1EEvPKT_S2_PS0_lf.has_recursion, 0
	.set _Z27rmsnorm_fwd_two_scan_kernelIfLi1EEvPKT_S2_PS0_lf.has_indirect_call, 0
	.section	.AMDGPU.csdata,"",@progbits
; Kernel info:
; codeLenInByte = 1380
; TotalNumSgprs: 19
; NumVgprs: 24
; ScratchSize: 0
; MemoryBound: 0
; FloatMode: 240
; IeeeMode: 1
; LDSByteSize: 128 bytes/workgroup (compile time only)
; SGPRBlocks: 0
; VGPRBlocks: 1
; NumSGPRsForWavesPerEU: 19
; NumVGPRsForWavesPerEU: 24
; NamedBarCnt: 0
; Occupancy: 16
; WaveLimiterHint : 0
; COMPUTE_PGM_RSRC2:SCRATCH_EN: 0
; COMPUTE_PGM_RSRC2:USER_SGPR: 2
; COMPUTE_PGM_RSRC2:TRAP_HANDLER: 0
; COMPUTE_PGM_RSRC2:TGID_X_EN: 1
; COMPUTE_PGM_RSRC2:TGID_Y_EN: 0
; COMPUTE_PGM_RSRC2:TGID_Z_EN: 0
; COMPUTE_PGM_RSRC2:TIDIG_COMP_CNT: 0
	.section	.AMDGPU.gpr_maximums,"",@progbits
	.set amdgpu.max_num_vgpr, 0
	.set amdgpu.max_num_agpr, 0
	.set amdgpu.max_num_sgpr, 0
	.section	.AMDGPU.csdata,"",@progbits
	.type	__hip_cuid_f1c4c7316d57412,@object ; @__hip_cuid_f1c4c7316d57412
	.section	.bss,"aw",@nobits
	.globl	__hip_cuid_f1c4c7316d57412
__hip_cuid_f1c4c7316d57412:
	.byte	0                               ; 0x0
	.size	__hip_cuid_f1c4c7316d57412, 1

	.ident	"AMD clang version 22.0.0git (https://github.com/RadeonOpenCompute/llvm-project roc-7.2.4 26084 f58b06dce1f9c15707c5f808fd002e18c2accf7e)"
	.section	".note.GNU-stack","",@progbits
	.addrsig
	.addrsig_sym __hip_cuid_f1c4c7316d57412
	.amdgpu_metadata
---
amdhsa.kernels:
  - .args:
      - .actual_access:  read_only
        .address_space:  global
        .offset:         0
        .size:           8
        .value_kind:     global_buffer
      - .actual_access:  read_only
        .address_space:  global
        .offset:         8
        .size:           8
        .value_kind:     global_buffer
      - .address_space:  global
        .offset:         16
        .size:           8
        .value_kind:     global_buffer
      - .offset:         24
        .size:           8
        .value_kind:     by_value
      - .offset:         32
        .size:           4
        .value_kind:     by_value
      - .offset:         40
        .size:           4
        .value_kind:     hidden_block_count_x
      - .offset:         44
        .size:           4
        .value_kind:     hidden_block_count_y
      - .offset:         48
        .size:           4
        .value_kind:     hidden_block_count_z
      - .offset:         52
        .size:           2
        .value_kind:     hidden_group_size_x
      - .offset:         54
        .size:           2
        .value_kind:     hidden_group_size_y
      - .offset:         56
        .size:           2
        .value_kind:     hidden_group_size_z
      - .offset:         58
        .size:           2
        .value_kind:     hidden_remainder_x
      - .offset:         60
        .size:           2
        .value_kind:     hidden_remainder_y
      - .offset:         62
        .size:           2
        .value_kind:     hidden_remainder_z
      - .offset:         80
        .size:           8
        .value_kind:     hidden_global_offset_x
      - .offset:         88
        .size:           8
        .value_kind:     hidden_global_offset_y
      - .offset:         96
        .size:           8
        .value_kind:     hidden_global_offset_z
      - .offset:         104
        .size:           2
        .value_kind:     hidden_grid_dims
    .group_segment_fixed_size: 128
    .kernarg_segment_align: 8
    .kernarg_segment_size: 296
    .language:       OpenCL C
    .language_version:
      - 2
      - 0
    .max_flat_workgroup_size: 1024
    .name:           _Z27rmsnorm_fwd_two_scan_kernelIfLi4EEvPKT_S2_PS0_lf
    .private_segment_fixed_size: 0
    .sgpr_count:     20
    .sgpr_spill_count: 0
    .symbol:         _Z27rmsnorm_fwd_two_scan_kernelIfLi4EEvPKT_S2_PS0_lf.kd
    .uniform_work_group_size: 1
    .uses_dynamic_stack: false
    .vgpr_count:     18
    .vgpr_spill_count: 0
    .wavefront_size: 32
  - .args:
      - .actual_access:  read_only
        .address_space:  global
        .offset:         0
        .size:           8
        .value_kind:     global_buffer
      - .actual_access:  read_only
        .address_space:  global
        .offset:         8
        .size:           8
        .value_kind:     global_buffer
      - .address_space:  global
        .offset:         16
        .size:           8
        .value_kind:     global_buffer
      - .offset:         24
        .size:           8
        .value_kind:     by_value
      - .offset:         32
        .size:           4
        .value_kind:     by_value
      - .offset:         40
        .size:           4
        .value_kind:     hidden_block_count_x
      - .offset:         44
        .size:           4
        .value_kind:     hidden_block_count_y
      - .offset:         48
        .size:           4
        .value_kind:     hidden_block_count_z
      - .offset:         52
        .size:           2
        .value_kind:     hidden_group_size_x
      - .offset:         54
        .size:           2
        .value_kind:     hidden_group_size_y
      - .offset:         56
        .size:           2
        .value_kind:     hidden_group_size_z
      - .offset:         58
        .size:           2
        .value_kind:     hidden_remainder_x
      - .offset:         60
        .size:           2
        .value_kind:     hidden_remainder_y
      - .offset:         62
        .size:           2
        .value_kind:     hidden_remainder_z
      - .offset:         80
        .size:           8
        .value_kind:     hidden_global_offset_x
      - .offset:         88
        .size:           8
        .value_kind:     hidden_global_offset_y
      - .offset:         96
        .size:           8
        .value_kind:     hidden_global_offset_z
      - .offset:         104
        .size:           2
        .value_kind:     hidden_grid_dims
    .group_segment_fixed_size: 128
    .kernarg_segment_align: 8
    .kernarg_segment_size: 296
    .language:       OpenCL C
    .language_version:
      - 2
      - 0
    .max_flat_workgroup_size: 1024
    .name:           _Z27rmsnorm_fwd_two_scan_kernelIfLi1EEvPKT_S2_PS0_lf
    .private_segment_fixed_size: 0
    .sgpr_count:     19
    .sgpr_spill_count: 0
    .symbol:         _Z27rmsnorm_fwd_two_scan_kernelIfLi1EEvPKT_S2_PS0_lf.kd
    .uniform_work_group_size: 1
    .uses_dynamic_stack: false
    .vgpr_count:     24
    .vgpr_spill_count: 0
    .wavefront_size: 32
amdhsa.target:   amdgcn-amd-amdhsa--gfx1250
amdhsa.version:
  - 1
  - 2
...

	.end_amdgpu_metadata
